;; amdgpu-corpus repo=ROCm/rocFFT kind=compiled arch=gfx1030 opt=O3
	.text
	.amdgcn_target "amdgcn-amd-amdhsa--gfx1030"
	.amdhsa_code_object_version 6
	.protected	fft_rtc_back_len864_factors_3_6_16_3_wgs_54_tpt_54_halfLds_dp_ip_CI_unitstride_sbrr_dirReg ; -- Begin function fft_rtc_back_len864_factors_3_6_16_3_wgs_54_tpt_54_halfLds_dp_ip_CI_unitstride_sbrr_dirReg
	.globl	fft_rtc_back_len864_factors_3_6_16_3_wgs_54_tpt_54_halfLds_dp_ip_CI_unitstride_sbrr_dirReg
	.p2align	8
	.type	fft_rtc_back_len864_factors_3_6_16_3_wgs_54_tpt_54_halfLds_dp_ip_CI_unitstride_sbrr_dirReg,@function
fft_rtc_back_len864_factors_3_6_16_3_wgs_54_tpt_54_halfLds_dp_ip_CI_unitstride_sbrr_dirReg: ; @fft_rtc_back_len864_factors_3_6_16_3_wgs_54_tpt_54_halfLds_dp_ip_CI_unitstride_sbrr_dirReg
; %bb.0:
	s_clause 0x2
	s_load_dwordx4 s[8:11], s[4:5], 0x0
	s_load_dwordx2 s[2:3], s[4:5], 0x50
	s_load_dwordx2 s[12:13], s[4:5], 0x18
	v_mul_u32_u24_e32 v1, 0x4be, v0
	v_mov_b32_e32 v3, 0
	v_add_nc_u32_sdwa v5, s6, v1 dst_sel:DWORD dst_unused:UNUSED_PAD src0_sel:DWORD src1_sel:WORD_1
	v_mov_b32_e32 v1, 0
	v_mov_b32_e32 v6, v3
	v_mov_b32_e32 v2, 0
	s_waitcnt lgkmcnt(0)
	v_cmp_lt_u64_e64 s0, s[10:11], 2
	s_and_b32 vcc_lo, exec_lo, s0
	s_cbranch_vccnz .LBB0_8
; %bb.1:
	s_load_dwordx2 s[0:1], s[4:5], 0x10
	v_mov_b32_e32 v1, 0
	s_add_u32 s6, s12, 8
	v_mov_b32_e32 v2, 0
	s_addc_u32 s7, s13, 0
	s_mov_b64 s[16:17], 1
	s_waitcnt lgkmcnt(0)
	s_add_u32 s14, s0, 8
	s_addc_u32 s15, s1, 0
.LBB0_2:                                ; =>This Inner Loop Header: Depth=1
	s_load_dwordx2 s[18:19], s[14:15], 0x0
                                        ; implicit-def: $vgpr7_vgpr8
	s_mov_b32 s0, exec_lo
	s_waitcnt lgkmcnt(0)
	v_or_b32_e32 v4, s19, v6
	v_cmpx_ne_u64_e32 0, v[3:4]
	s_xor_b32 s1, exec_lo, s0
	s_cbranch_execz .LBB0_4
; %bb.3:                                ;   in Loop: Header=BB0_2 Depth=1
	v_cvt_f32_u32_e32 v4, s18
	v_cvt_f32_u32_e32 v7, s19
	s_sub_u32 s0, 0, s18
	s_subb_u32 s20, 0, s19
	v_fmac_f32_e32 v4, 0x4f800000, v7
	v_rcp_f32_e32 v4, v4
	v_mul_f32_e32 v4, 0x5f7ffffc, v4
	v_mul_f32_e32 v7, 0x2f800000, v4
	v_trunc_f32_e32 v7, v7
	v_fmac_f32_e32 v4, 0xcf800000, v7
	v_cvt_u32_f32_e32 v7, v7
	v_cvt_u32_f32_e32 v4, v4
	v_mul_lo_u32 v8, s0, v7
	v_mul_hi_u32 v9, s0, v4
	v_mul_lo_u32 v10, s20, v4
	v_add_nc_u32_e32 v8, v9, v8
	v_mul_lo_u32 v9, s0, v4
	v_add_nc_u32_e32 v8, v8, v10
	v_mul_hi_u32 v10, v4, v9
	v_mul_lo_u32 v11, v4, v8
	v_mul_hi_u32 v12, v4, v8
	v_mul_hi_u32 v13, v7, v9
	v_mul_lo_u32 v9, v7, v9
	v_mul_hi_u32 v14, v7, v8
	v_mul_lo_u32 v8, v7, v8
	v_add_co_u32 v10, vcc_lo, v10, v11
	v_add_co_ci_u32_e32 v11, vcc_lo, 0, v12, vcc_lo
	v_add_co_u32 v9, vcc_lo, v10, v9
	v_add_co_ci_u32_e32 v9, vcc_lo, v11, v13, vcc_lo
	v_add_co_ci_u32_e32 v10, vcc_lo, 0, v14, vcc_lo
	v_add_co_u32 v8, vcc_lo, v9, v8
	v_add_co_ci_u32_e32 v9, vcc_lo, 0, v10, vcc_lo
	v_add_co_u32 v4, vcc_lo, v4, v8
	v_add_co_ci_u32_e32 v7, vcc_lo, v7, v9, vcc_lo
	v_mul_hi_u32 v8, s0, v4
	v_mul_lo_u32 v10, s20, v4
	v_mul_lo_u32 v9, s0, v7
	v_add_nc_u32_e32 v8, v8, v9
	v_mul_lo_u32 v9, s0, v4
	v_add_nc_u32_e32 v8, v8, v10
	v_mul_hi_u32 v10, v4, v9
	v_mul_lo_u32 v11, v4, v8
	v_mul_hi_u32 v12, v4, v8
	v_mul_hi_u32 v13, v7, v9
	v_mul_lo_u32 v9, v7, v9
	v_mul_hi_u32 v14, v7, v8
	v_mul_lo_u32 v8, v7, v8
	v_add_co_u32 v10, vcc_lo, v10, v11
	v_add_co_ci_u32_e32 v11, vcc_lo, 0, v12, vcc_lo
	v_add_co_u32 v9, vcc_lo, v10, v9
	v_add_co_ci_u32_e32 v9, vcc_lo, v11, v13, vcc_lo
	v_add_co_ci_u32_e32 v10, vcc_lo, 0, v14, vcc_lo
	v_add_co_u32 v8, vcc_lo, v9, v8
	v_add_co_ci_u32_e32 v9, vcc_lo, 0, v10, vcc_lo
	v_add_co_u32 v4, vcc_lo, v4, v8
	v_add_co_ci_u32_e32 v11, vcc_lo, v7, v9, vcc_lo
	v_mul_hi_u32 v13, v5, v4
	v_mad_u64_u32 v[9:10], null, v6, v4, 0
	v_mad_u64_u32 v[7:8], null, v5, v11, 0
	;; [unrolled: 1-line block ×3, first 2 shown]
	v_add_co_u32 v4, vcc_lo, v13, v7
	v_add_co_ci_u32_e32 v7, vcc_lo, 0, v8, vcc_lo
	v_add_co_u32 v4, vcc_lo, v4, v9
	v_add_co_ci_u32_e32 v4, vcc_lo, v7, v10, vcc_lo
	v_add_co_ci_u32_e32 v7, vcc_lo, 0, v12, vcc_lo
	v_add_co_u32 v4, vcc_lo, v4, v11
	v_add_co_ci_u32_e32 v9, vcc_lo, 0, v7, vcc_lo
	v_mul_lo_u32 v10, s19, v4
	v_mad_u64_u32 v[7:8], null, s18, v4, 0
	v_mul_lo_u32 v11, s18, v9
	v_sub_co_u32 v7, vcc_lo, v5, v7
	v_add3_u32 v8, v8, v11, v10
	v_sub_nc_u32_e32 v10, v6, v8
	v_subrev_co_ci_u32_e64 v10, s0, s19, v10, vcc_lo
	v_add_co_u32 v11, s0, v4, 2
	v_add_co_ci_u32_e64 v12, s0, 0, v9, s0
	v_sub_co_u32 v13, s0, v7, s18
	v_sub_co_ci_u32_e32 v8, vcc_lo, v6, v8, vcc_lo
	v_subrev_co_ci_u32_e64 v10, s0, 0, v10, s0
	v_cmp_le_u32_e32 vcc_lo, s18, v13
	v_cmp_eq_u32_e64 s0, s19, v8
	v_cndmask_b32_e64 v13, 0, -1, vcc_lo
	v_cmp_le_u32_e32 vcc_lo, s19, v10
	v_cndmask_b32_e64 v14, 0, -1, vcc_lo
	v_cmp_le_u32_e32 vcc_lo, s18, v7
	;; [unrolled: 2-line block ×3, first 2 shown]
	v_cndmask_b32_e64 v15, 0, -1, vcc_lo
	v_cmp_eq_u32_e32 vcc_lo, s19, v10
	v_cndmask_b32_e64 v7, v15, v7, s0
	v_cndmask_b32_e32 v10, v14, v13, vcc_lo
	v_add_co_u32 v13, vcc_lo, v4, 1
	v_add_co_ci_u32_e32 v14, vcc_lo, 0, v9, vcc_lo
	v_cmp_ne_u32_e32 vcc_lo, 0, v10
	v_cndmask_b32_e32 v8, v14, v12, vcc_lo
	v_cndmask_b32_e32 v10, v13, v11, vcc_lo
	v_cmp_ne_u32_e32 vcc_lo, 0, v7
	v_cndmask_b32_e32 v8, v9, v8, vcc_lo
	v_cndmask_b32_e32 v7, v4, v10, vcc_lo
.LBB0_4:                                ;   in Loop: Header=BB0_2 Depth=1
	s_andn2_saveexec_b32 s0, s1
	s_cbranch_execz .LBB0_6
; %bb.5:                                ;   in Loop: Header=BB0_2 Depth=1
	v_cvt_f32_u32_e32 v4, s18
	s_sub_i32 s1, 0, s18
	v_rcp_iflag_f32_e32 v4, v4
	v_mul_f32_e32 v4, 0x4f7ffffe, v4
	v_cvt_u32_f32_e32 v4, v4
	v_mul_lo_u32 v7, s1, v4
	v_mul_hi_u32 v7, v4, v7
	v_add_nc_u32_e32 v4, v4, v7
	v_mul_hi_u32 v4, v5, v4
	v_mul_lo_u32 v7, v4, s18
	v_add_nc_u32_e32 v8, 1, v4
	v_sub_nc_u32_e32 v7, v5, v7
	v_subrev_nc_u32_e32 v9, s18, v7
	v_cmp_le_u32_e32 vcc_lo, s18, v7
	v_cndmask_b32_e32 v7, v7, v9, vcc_lo
	v_cndmask_b32_e32 v4, v4, v8, vcc_lo
	v_cmp_le_u32_e32 vcc_lo, s18, v7
	v_add_nc_u32_e32 v8, 1, v4
	v_cndmask_b32_e32 v7, v4, v8, vcc_lo
	v_mov_b32_e32 v8, v3
.LBB0_6:                                ;   in Loop: Header=BB0_2 Depth=1
	s_or_b32 exec_lo, exec_lo, s0
	s_load_dwordx2 s[0:1], s[6:7], 0x0
	v_mul_lo_u32 v4, v8, s18
	v_mul_lo_u32 v11, v7, s19
	v_mad_u64_u32 v[9:10], null, v7, s18, 0
	s_add_u32 s16, s16, 1
	s_addc_u32 s17, s17, 0
	s_add_u32 s6, s6, 8
	s_addc_u32 s7, s7, 0
	;; [unrolled: 2-line block ×3, first 2 shown]
	v_add3_u32 v4, v10, v11, v4
	v_sub_co_u32 v5, vcc_lo, v5, v9
	v_sub_co_ci_u32_e32 v4, vcc_lo, v6, v4, vcc_lo
	s_waitcnt lgkmcnt(0)
	v_mul_lo_u32 v6, s1, v5
	v_mul_lo_u32 v4, s0, v4
	v_mad_u64_u32 v[1:2], null, s0, v5, v[1:2]
	v_cmp_ge_u64_e64 s0, s[16:17], s[10:11]
	s_and_b32 vcc_lo, exec_lo, s0
	v_add3_u32 v2, v6, v2, v4
	s_cbranch_vccnz .LBB0_9
; %bb.7:                                ;   in Loop: Header=BB0_2 Depth=1
	v_mov_b32_e32 v5, v7
	v_mov_b32_e32 v6, v8
	s_branch .LBB0_2
.LBB0_8:
	v_mov_b32_e32 v8, v6
	v_mov_b32_e32 v7, v5
.LBB0_9:
	s_lshl_b64 s[0:1], s[10:11], 3
	v_mul_hi_u32 v5, 0x4bda130, v0
	s_add_u32 s0, s12, s0
	s_addc_u32 s1, s13, s1
                                        ; implicit-def: $vgpr22_vgpr23
                                        ; implicit-def: $vgpr50_vgpr51
                                        ; implicit-def: $vgpr74_vgpr75
                                        ; implicit-def: $vgpr30_vgpr31
                                        ; implicit-def: $vgpr42_vgpr43
                                        ; implicit-def: $vgpr34_vgpr35
                                        ; implicit-def: $vgpr62_vgpr63
                                        ; implicit-def: $vgpr46_vgpr47
                                        ; implicit-def: $vgpr54_vgpr55
                                        ; implicit-def: $vgpr66_vgpr67
                                        ; implicit-def: $vgpr70_vgpr71
                                        ; implicit-def: $vgpr86_vgpr87
                                        ; implicit-def: $vgpr82_vgpr83
                                        ; implicit-def: $vgpr78_vgpr79
                                        ; implicit-def: $vgpr58_vgpr59
                                        ; implicit-def: $vgpr38_vgpr39
                                        ; implicit-def: $vgpr26_vgpr27
	s_load_dwordx2 s[0:1], s[0:1], 0x0
	s_load_dwordx2 s[4:5], s[4:5], 0x20
	s_waitcnt lgkmcnt(0)
	v_mul_lo_u32 v3, s0, v8
	v_mul_lo_u32 v4, s1, v7
	v_mad_u64_u32 v[1:2], null, s0, v7, v[1:2]
	v_cmp_gt_u64_e64 s0, s[4:5], v[7:8]
	v_add3_u32 v2, v4, v2, v3
	v_mul_u32_u24_e32 v3, 54, v5
                                        ; implicit-def: $vgpr4_vgpr5
	v_lshlrev_b64 v[110:111], 4, v[1:2]
	v_sub_nc_u32_e32 v108, v0, v3
	s_and_saveexec_b32 s1, s0
	s_cbranch_execz .LBB0_13
; %bb.10:
	v_mov_b32_e32 v109, 0
	v_add_co_u32 v4, vcc_lo, s2, v110
	v_add_co_ci_u32_e32 v5, vcc_lo, s3, v111, vcc_lo
	v_lshlrev_b64 v[0:1], 4, v[108:109]
	v_or_b32_e32 v2, 0x240, v108
	v_mov_b32_e32 v3, v109
	s_mov_b32 s4, exec_lo
                                        ; implicit-def: $vgpr76_vgpr77
                                        ; implicit-def: $vgpr80_vgpr81
                                        ; implicit-def: $vgpr84_vgpr85
	v_add_co_u32 v8, vcc_lo, v4, v0
	v_add_co_ci_u32_e32 v9, vcc_lo, v5, v1, vcc_lo
	v_lshlrev_b64 v[2:3], 4, v[2:3]
	v_add_co_u32 v0, vcc_lo, 0x1000, v8
	v_add_co_ci_u32_e32 v1, vcc_lo, 0, v9, vcc_lo
	v_add_co_u32 v10, vcc_lo, v4, v2
	v_add_co_ci_u32_e32 v11, vcc_lo, v5, v3, vcc_lo
	;; [unrolled: 2-line block ×6, first 2 shown]
	s_clause 0x3
	global_load_dwordx4 v[24:27], v[8:9], off
	global_load_dwordx4 v[2:5], v[8:9], off offset:864
	global_load_dwordx4 v[20:23], v[0:1], off offset:512
	;; [unrolled: 1-line block ×3, first 2 shown]
	v_add_co_u32 v8, vcc_lo, 0x3000, v8
	s_clause 0x5
	global_load_dwordx4 v[28:31], v[6:7], off offset:1888
	global_load_dwordx4 v[40:43], v[12:13], off offset:192
	;; [unrolled: 1-line block ×6, first 2 shown]
	v_add_co_ci_u32_e32 v9, vcc_lo, 0, v9, vcc_lo
	s_clause 0x4
	global_load_dwordx4 v[60:63], v[12:13], off offset:1056
	global_load_dwordx4 v[64:67], v[12:13], off offset:1920
	global_load_dwordx4 v[48:51], v[10:11], off
	global_load_dwordx4 v[72:75], v[0:1], off offset:1376
	global_load_dwordx4 v[68:71], v[8:9], off offset:384
	v_cmpx_gt_u32_e32 18, v108
; %bb.11:
	s_clause 0x2
	global_load_dwordx4 v[76:79], v[0:1], off offset:224
	global_load_dwordx4 v[80:83], v[6:7], off offset:736
	;; [unrolled: 1-line block ×3, first 2 shown]
; %bb.12:
	s_or_b32 exec_lo, exec_lo, s4
.LBB0_13:
	s_or_b32 exec_lo, exec_lo, s1
	s_waitcnt vmcnt(8)
	v_add_f64 v[0:1], v[40:41], v[32:33]
	s_waitcnt vmcnt(4)
	v_add_f64 v[6:7], v[60:61], v[44:45]
	;; [unrolled: 2-line block ×5, first 2 shown]
	v_add_f64 v[14:15], v[84:85], v[80:81]
	v_add_f64 v[16:17], v[42:43], -v[34:35]
	v_add_f64 v[18:19], v[62:63], -v[46:47]
	v_add_f64 v[88:89], v[20:21], v[24:25]
	v_add_f64 v[90:91], v[22:23], -v[50:51]
	v_add_f64 v[92:93], v[2:3], v[72:73]
	;; [unrolled: 2-line block ×3, first 2 shown]
	v_add_f64 v[100:101], v[80:81], v[76:77]
	v_add_f64 v[102:103], v[52:53], v[64:65]
	v_add_f64 v[98:99], v[60:61], v[56:57]
	s_mov_b32 s4, 0xe8584caa
	s_mov_b32 s5, 0xbfebb67a
	;; [unrolled: 1-line block ×4, first 2 shown]
	v_cmp_gt_u32_e32 vcc_lo, 18, v108
	v_fma_f64 v[36:37], v[0:1], -0.5, v[36:37]
	v_fma_f64 v[6:7], v[6:7], -0.5, v[56:57]
	;; [unrolled: 1-line block ×4, first 2 shown]
	v_add_f64 v[10:11], v[66:67], -v[70:71]
	v_fma_f64 v[12:13], v[12:13], -0.5, v[52:53]
	v_add_f64 v[24:25], v[82:83], -v[86:87]
	v_fma_f64 v[14:15], v[14:15], -0.5, v[76:77]
	v_add_f64 v[88:89], v[48:49], v[88:89]
	v_add_f64 v[92:93], v[92:93], v[28:29]
	;; [unrolled: 1-line block ×6, first 2 shown]
	v_fma_f64 v[100:101], v[16:17], s[6:7], v[36:37]
	v_fma_f64 v[102:103], v[18:19], s[6:7], v[6:7]
	;; [unrolled: 1-line block ×12, first 2 shown]
	v_mad_u32_u24 v36, v108, 24, 0
	v_add_nc_u32_e32 v10, 0x800, v36
	v_add_nc_u32_e32 v57, 0xa20, v36
	;; [unrolled: 1-line block ×5, first 2 shown]
	ds_write2_b64 v10, v[100:101], v[102:103] offset0:70 offset1:232
	ds_write2_b64 v36, v[88:89], v[104:105] offset1:1
	ds_write2_b64 v36, v[92:93], v[106:107] offset0:162 offset1:163
	ds_write2_b64 v36, v[8:9], v[90:91] offset0:2 offset1:164
	ds_write2_b64 v57, v[96:97], v[94:95] offset1:1
	ds_write2_b64 v76, v[98:99], v[6:7] offset1:1
	;; [unrolled: 1-line block ×3, first 2 shown]
	ds_write_b64 v36, v[16:17] offset:5200
	s_and_saveexec_b32 s1, vcc_lo
	s_cbranch_execz .LBB0_15
; %bb.14:
	ds_write2_b64 v37, v[52:53], v[12:13] offset1:1
	ds_write_b64 v36, v[14:15] offset:6496
.LBB0_15:
	s_or_b32 exec_lo, exec_lo, s1
	v_lshlrev_b32_e32 v6, 4, v108
	s_waitcnt lgkmcnt(0)
	s_barrier
	buffer_gl0_inv
	v_cmp_gt_u32_e64 s1, 36, v108
	v_sub_nc_u32_e32 v112, v36, v6
	v_add_nc_u32_e32 v7, 0x800, v112
	v_add_nc_u32_e32 v18, 0x1000, v112
	;; [unrolled: 1-line block ×3, first 2 shown]
	ds_read2_b64 v[8:11], v112 offset1:54
	ds_read2_b64 v[104:107], v112 offset0:144 offset1:198
	ds_read2_b64 v[100:103], v7 offset0:32 offset1:86
	;; [unrolled: 1-line block ×5, first 2 shown]
	s_and_saveexec_b32 s4, s1
	s_cbranch_execz .LBB0_17
; %bb.16:
	v_add_nc_u32_e32 v0, 0xc00, v112
	ds_read2_b64 v[12:15], v6 offset0:44 offset1:188
	ds_read2_b64 v[16:19], v0 offset0:12 offset1:156
	;; [unrolled: 1-line block ×3, first 2 shown]
	s_waitcnt lgkmcnt(1)
	v_mov_b32_e32 v53, v19
	v_mov_b32_e32 v52, v18
.LBB0_17:
	s_or_b32 exec_lo, exec_lo, s4
	v_add_f64 v[6:7], v[22:23], v[50:51]
	v_add_f64 v[18:19], v[74:75], v[30:31]
	;; [unrolled: 1-line block ×7, first 2 shown]
	v_add_f64 v[20:21], v[20:21], -v[48:49]
	v_add_f64 v[48:49], v[4:5], v[74:75]
	v_add_f64 v[42:43], v[42:43], v[38:39]
	;; [unrolled: 1-line block ×5, first 2 shown]
	s_mov_b32 s4, 0xe8584caa
	s_mov_b32 s5, 0x3febb67a
	;; [unrolled: 1-line block ×4, first 2 shown]
	s_waitcnt lgkmcnt(0)
	s_barrier
	buffer_gl0_inv
	v_fma_f64 v[6:7], v[6:7], -0.5, v[26:27]
	v_add_f64 v[26:27], v[72:73], -v[28:29]
	v_fma_f64 v[18:19], v[18:19], -0.5, v[4:5]
	v_add_f64 v[28:29], v[40:41], -v[32:33]
	;; [unrolled: 2-line block ×5, first 2 shown]
	v_fma_f64 v[60:61], v[117:118], -0.5, v[78:79]
	v_add_f64 v[50:51], v[50:51], v[22:23]
	v_add_f64 v[30:31], v[48:49], v[30:31]
	;; [unrolled: 1-line block ×6, first 2 shown]
	v_fma_f64 v[46:47], v[20:21], s[4:5], v[6:7]
	v_fma_f64 v[20:21], v[20:21], s[6:7], v[6:7]
	;; [unrolled: 1-line block ×12, first 2 shown]
	v_add_nc_u32_e32 v40, 0x800, v36
	ds_write2_b64 v36, v[50:51], v[46:47] offset1:1
	ds_write2_b64 v36, v[30:31], v[48:49] offset0:162 offset1:163
	ds_write2_b64 v36, v[20:21], v[18:19] offset0:2 offset1:164
	ds_write2_b64 v57, v[34:35], v[62:63] offset1:1
	ds_write2_b64 v76, v[42:43], v[64:65] offset1:1
	ds_write2_b64 v40, v[32:33], v[38:39] offset0:70 offset1:232
	ds_write2_b64 v56, v[4:5], v[6:7] offset1:1
	ds_write_b64 v36, v[22:23] offset:5200
	s_and_saveexec_b32 s4, vcc_lo
	s_cbranch_execz .LBB0_19
; %bb.18:
	ds_write2_b64 v37, v[24:25], v[26:27] offset1:1
	ds_write_b64 v36, v[28:29] offset:6496
.LBB0_19:
	s_or_b32 exec_lo, exec_lo, s4
	v_add_nc_u32_e32 v30, 0x800, v112
	v_add_nc_u32_e32 v31, 0x1000, v112
	;; [unrolled: 1-line block ×3, first 2 shown]
	s_waitcnt lgkmcnt(0)
	s_barrier
	buffer_gl0_inv
	ds_read2_b64 v[18:21], v112 offset1:54
	ds_read2_b64 v[46:49], v112 offset0:144 offset1:198
	ds_read2_b64 v[42:45], v30 offset0:32 offset1:86
	;; [unrolled: 1-line block ×5, first 2 shown]
	s_and_saveexec_b32 s4, s1
	s_cbranch_execz .LBB0_21
; %bb.20:
	v_add_nc_u32_e32 v4, 0xc00, v112
	ds_read2_b64 v[26:29], v50 offset0:44 offset1:188
	ds_read2_b64 v[22:25], v4 offset0:12 offset1:156
	;; [unrolled: 1-line block ×3, first 2 shown]
.LBB0_21:
	s_or_b32 exec_lo, exec_lo, s4
	v_and_b32_e32 v113, 0xff, v108
	v_mov_b32_e32 v86, 5
	v_add_nc_u32_e32 v109, 54, v108
	s_mov_b32 s4, 0xe8584caa
	s_mov_b32 s5, 0xbfebb67a
	v_mul_lo_u16 v50, 0xab, v113
	s_mov_b32 s7, 0x3febb67a
	s_mov_b32 s6, s4
	v_lshrrev_b16 v130, 9, v50
	v_mul_lo_u16 v50, v130, 3
	v_sub_nc_u16 v131, v108, v50
	v_and_b32_e32 v50, 0xff, v109
	v_mul_u32_u24_sdwa v51, v131, v86 dst_sel:DWORD dst_unused:UNUSED_PAD src0_sel:BYTE_0 src1_sel:DWORD
	v_mul_lo_u16 v50, 0xab, v50
	v_lshlrev_b32_e32 v87, 4, v51
	v_lshrrev_b16 v132, 9, v50
	global_load_dwordx4 v[54:57], v87, s[8:9]
	v_mul_lo_u16 v50, v132, 3
	v_sub_nc_u16 v133, v109, v50
	v_mul_u32_u24_sdwa v50, v133, v86 dst_sel:DWORD dst_unused:UNUSED_PAD src0_sel:BYTE_0 src1_sel:DWORD
	v_lshlrev_b32_e32 v118, 4, v50
	s_clause 0x6
	global_load_dwordx4 v[58:61], v118, s[8:9]
	global_load_dwordx4 v[62:65], v87, s[8:9] offset:16
	global_load_dwordx4 v[66:69], v118, s[8:9] offset:16
	global_load_dwordx4 v[70:73], v87, s[8:9] offset:32
	global_load_dwordx4 v[74:77], v118, s[8:9] offset:32
	global_load_dwordx4 v[78:81], v87, s[8:9] offset:64
	global_load_dwordx4 v[82:85], v118, s[8:9] offset:64
	s_waitcnt vmcnt(7) lgkmcnt(4)
	v_mul_f64 v[50:51], v[46:47], v[56:57]
	v_mul_f64 v[56:57], v[104:105], v[56:57]
	v_fma_f64 v[114:115], v[104:105], v[54:55], v[50:51]
	s_waitcnt vmcnt(6)
	v_mul_f64 v[50:51], v[48:49], v[60:61]
	v_fma_f64 v[46:47], v[46:47], v[54:55], -v[56:57]
	v_mul_f64 v[54:55], v[106:107], v[60:61]
	s_waitcnt vmcnt(5)
	v_mul_f64 v[56:57], v[100:101], v[64:65]
	s_waitcnt vmcnt(4) lgkmcnt(3)
	v_mul_f64 v[60:61], v[44:45], v[68:69]
	v_add_nc_u32_e32 v104, 0x6c, v108
	v_fma_f64 v[116:117], v[106:107], v[58:59], v[50:51]
	v_mul_f64 v[50:51], v[42:43], v[64:65]
	v_fma_f64 v[48:49], v[48:49], v[58:59], -v[54:55]
	v_and_b32_e32 v54, 0xff, v104
	v_mul_f64 v[64:65], v[102:103], v[68:69]
	v_mul_lo_u16 v54, 0xab, v54
	v_lshrrev_b16 v105, 9, v54
	v_fma_f64 v[54:55], v[42:43], v[62:63], -v[56:57]
	global_load_dwordx4 v[56:59], v87, s[8:9] offset:48
	v_fma_f64 v[42:43], v[102:103], v[66:67], v[60:61]
	s_waitcnt vmcnt(4)
	v_mul_f64 v[60:61], v[96:97], v[72:73]
	v_mul_lo_u16 v68, v105, 3
	v_sub_nc_u16 v106, v104, v68
	v_fma_f64 v[50:51], v[100:101], v[62:63], v[50:51]
	s_waitcnt lgkmcnt(2)
	v_mul_f64 v[62:63], v[38:39], v[72:73]
	s_waitcnt vmcnt(3)
	v_mul_f64 v[72:73], v[40:41], v[76:77]
	v_fma_f64 v[44:45], v[44:45], v[66:67], -v[64:65]
	v_mul_u32_u24_sdwa v68, v106, v86 dst_sel:DWORD dst_unused:UNUSED_PAD src0_sel:BYTE_0 src1_sel:DWORD
	global_load_dwordx4 v[64:67], v118, s[8:9] offset:48
	v_mul_f64 v[76:77], v[98:99], v[76:77]
	v_lshlrev_b32_e32 v107, 4, v68
	v_fma_f64 v[38:39], v[38:39], v[70:71], -v[60:61]
	s_waitcnt vmcnt(2) lgkmcnt(0)
	v_mul_f64 v[60:61], v[36:37], v[84:85]
	v_fma_f64 v[118:119], v[96:97], v[70:71], v[62:63]
	global_load_dwordx4 v[68:71], v107, s[8:9] offset:32
	v_mul_f64 v[86:87], v[34:35], v[80:81]
	v_mul_f64 v[80:81], v[92:93], v[80:81]
	v_fma_f64 v[120:121], v[98:99], v[74:75], v[72:73]
	s_clause 0x1
	global_load_dwordx4 v[96:99], v107, s[8:9] offset:64
	global_load_dwordx4 v[100:103], v107, s[8:9]
	v_mul_f64 v[62:63], v[94:95], v[84:85]
	v_fma_f64 v[40:41], v[40:41], v[74:75], -v[76:77]
	v_fma_f64 v[122:123], v[94:95], v[82:83], v[60:61]
	v_fma_f64 v[92:93], v[92:93], v[78:79], v[86:87]
	v_fma_f64 v[34:35], v[34:35], v[78:79], -v[80:81]
	s_clause 0x1
	global_load_dwordx4 v[78:81], v107, s[8:9] offset:16
	global_load_dwordx4 v[84:87], v107, s[8:9] offset:48
	v_fma_f64 v[36:37], v[36:37], v[82:83], -v[62:63]
	s_waitcnt vmcnt(0)
	s_barrier
	buffer_gl0_inv
	v_add_f64 v[94:95], v[120:121], -v[122:123]
	v_add_f64 v[74:75], v[38:39], v[34:35]
	v_mul_f64 v[60:61], v[30:31], v[58:59]
	v_mul_f64 v[58:59], v[88:89], v[58:59]
	;; [unrolled: 1-line block ×4, first 2 shown]
	v_fma_f64 v[62:63], v[88:89], v[56:57], v[60:61]
	v_fma_f64 v[30:31], v[30:31], v[56:57], -v[58:59]
	v_mul_f64 v[56:57], v[24:25], v[70:71]
	v_mul_f64 v[58:59], v[52:53], v[70:71]
	;; [unrolled: 1-line block ×3, first 2 shown]
	v_fma_f64 v[60:61], v[90:91], v[64:65], v[72:73]
	v_fma_f64 v[66:67], v[32:33], v[64:65], -v[66:67]
	v_add_f64 v[64:65], v[40:41], v[36:37]
	v_mul_f64 v[76:77], v[6:7], v[102:103]
	v_mul_f64 v[82:83], v[2:3], v[102:103]
	v_add_f64 v[90:91], v[120:121], v[122:123]
	v_fma_f64 v[72:73], v[52:53], v[68:69], v[56:57]
	v_fma_f64 v[32:33], v[24:25], v[68:69], -v[58:59]
	v_mul_f64 v[24:25], v[28:29], v[98:99]
	v_mul_f64 v[88:89], v[22:23], v[80:81]
	;; [unrolled: 1-line block ×3, first 2 shown]
	v_fma_f64 v[52:53], v[28:29], v[96:97], -v[70:71]
	v_add_f64 v[28:29], v[118:119], v[92:93]
	v_add_f64 v[58:59], v[118:119], -v[92:93]
	v_fma_f64 v[68:69], v[74:75], -0.5, v[46:47]
	v_fma_f64 v[98:99], v[64:65], -0.5, v[48:49]
	v_fma_f64 v[74:75], v[2:3], v[100:101], v[76:77]
	v_fma_f64 v[64:65], v[6:7], v[100:101], -v[82:83]
	v_mul_f64 v[80:81], v[16:17], v[80:81]
	v_mul_f64 v[82:83], v[12:13], v[86:87]
	v_fma_f64 v[76:77], v[14:15], v[96:97], v[24:25]
	v_fma_f64 v[2:3], v[16:17], v[78:79], v[88:89]
	;; [unrolled: 1-line block ×3, first 2 shown]
	v_add_f64 v[12:13], v[50:51], v[62:63]
	v_add_f64 v[56:57], v[38:39], -v[34:35]
	v_add_f64 v[14:15], v[42:43], v[60:61]
	v_add_f64 v[86:87], v[32:33], v[52:53]
	v_fma_f64 v[88:89], v[28:29], -0.5, v[114:115]
	v_fma_f64 v[28:29], v[58:59], s[4:5], v[68:69]
	v_fma_f64 v[70:71], v[58:59], s[6:7], v[68:69]
	v_add_f64 v[96:97], v[40:41], -v[36:37]
	v_fma_f64 v[58:59], v[90:91], -0.5, v[116:117]
	v_fma_f64 v[16:17], v[94:95], s[6:7], v[98:99]
	v_fma_f64 v[68:69], v[22:23], v[78:79], -v[80:81]
	v_fma_f64 v[26:27], v[26:27], v[84:85], -v[82:83]
	v_add_f64 v[22:23], v[8:9], v[50:51]
	v_add_f64 v[78:79], v[54:55], -v[30:31]
	v_add_f64 v[80:81], v[114:115], v[118:119]
	v_add_f64 v[82:83], v[10:11], v[42:43]
	;; [unrolled: 1-line block ×3, first 2 shown]
	v_fma_f64 v[24:25], v[94:95], s[4:5], v[98:99]
	v_add_f64 v[84:85], v[44:45], -v[66:67]
	v_add_f64 v[100:101], v[72:73], v[76:77]
	v_add_f64 v[114:115], v[72:73], -v[76:77]
	v_add_f64 v[98:99], v[2:3], v[6:7]
	v_fma_f64 v[102:103], v[12:13], -0.5, v[8:9]
	v_add_f64 v[120:121], v[32:33], -v[52:53]
	v_fma_f64 v[116:117], v[14:15], -0.5, v[10:11]
	v_fma_f64 v[86:87], v[86:87], -0.5, v[64:65]
	v_fma_f64 v[14:15], v[56:57], s[4:5], v[88:89]
	v_fma_f64 v[10:11], v[56:57], s[6:7], v[88:89]
	v_mul_f64 v[56:57], v[28:29], s[4:5]
	v_mul_f64 v[118:119], v[70:71], s[4:5]
	v_fma_f64 v[8:9], v[96:97], s[4:5], v[58:59]
	v_mul_f64 v[88:89], v[16:17], s[4:5]
	v_mov_b32_e32 v94, 0x90
	v_mov_b32_e32 v95, 3
	v_add_f64 v[22:23], v[22:23], v[62:63]
	v_fma_f64 v[12:13], v[96:97], s[6:7], v[58:59]
	v_add_f64 v[124:125], v[80:81], v[92:93]
	v_add_f64 v[126:127], v[82:83], v[60:61]
	;; [unrolled: 1-line block ×3, first 2 shown]
	v_mul_f64 v[58:59], v[24:25], s[4:5]
	v_add_f64 v[96:97], v[68:69], -v[26:27]
	v_fma_f64 v[100:101], v[100:101], -0.5, v[74:75]
	v_mul_u32_u24_sdwa v93, v132, v94 dst_sel:DWORD dst_unused:UNUSED_PAD src0_sel:WORD_0 src1_sel:DWORD
	v_fma_f64 v[98:99], v[98:99], -0.5, v[0:1]
	v_fma_f64 v[122:123], v[78:79], s[4:5], v[102:103]
	v_fma_f64 v[102:103], v[78:79], s[6:7], v[102:103]
	v_mul_u32_u24_sdwa v78, v130, v94 dst_sel:DWORD dst_unused:UNUSED_PAD src0_sel:WORD_0 src1_sel:DWORD
	v_fma_f64 v[80:81], v[114:115], s[6:7], v[86:87]
	v_fma_f64 v[82:83], v[114:115], s[4:5], v[86:87]
	v_lshlrev_b32_sdwa v79, v95, v131 dst_sel:DWORD dst_unused:UNUSED_PAD src0_sel:DWORD src1_sel:BYTE_0
	v_fma_f64 v[56:57], v[10:11], -0.5, v[56:57]
	v_fma_f64 v[128:129], v[84:85], s[4:5], v[116:117]
	v_fma_f64 v[118:119], v[14:15], 0.5, v[118:119]
	v_fma_f64 v[88:89], v[8:9], 0.5, v[88:89]
	v_add3_u32 v92, 0, v78, v79
	v_fma_f64 v[116:117], v[84:85], s[6:7], v[116:117]
	v_add_f64 v[114:115], v[22:23], v[124:125]
	v_add_f64 v[124:125], v[22:23], -v[124:125]
	v_add_f64 v[130:131], v[126:127], v[90:91]
	v_add_f64 v[126:127], v[126:127], -v[90:91]
	v_fma_f64 v[58:59], v[12:13], -0.5, v[58:59]
	v_fma_f64 v[22:23], v[120:121], s[4:5], v[100:101]
	v_fma_f64 v[78:79], v[120:121], s[6:7], v[100:101]
	;; [unrolled: 1-line block ×4, first 2 shown]
	v_mul_f64 v[90:91], v[80:81], s[4:5]
	v_add_f64 v[100:101], v[102:103], v[56:57]
	v_add_f64 v[102:103], v[102:103], -v[56:57]
	v_mul_f64 v[56:57], v[82:83], s[4:5]
	v_add_f64 v[96:97], v[122:123], v[118:119]
	v_add_f64 v[98:99], v[122:123], -v[118:119]
	v_add_f64 v[118:119], v[128:129], v[88:89]
	v_add_f64 v[120:121], v[128:129], -v[88:89]
	;; [unrolled: 2-line block ×3, first 2 shown]
	v_fma_f64 v[88:89], v[22:23], 0.5, v[90:91]
	v_fma_f64 v[90:91], v[78:79], -0.5, v[56:57]
	ds_write2_b64 v92, v[114:115], v[96:97] offset1:3
	v_lshlrev_b32_sdwa v96, v95, v133 dst_sel:DWORD dst_unused:UNUSED_PAD src0_sel:DWORD src1_sel:BYTE_0
	v_add3_u32 v93, 0, v93, v96
	ds_write2_b64 v92, v[100:101], v[124:125] offset0:6 offset1:9
	ds_write2_b64 v92, v[98:99], v[102:103] offset0:12 offset1:15
	ds_write2_b64 v93, v[130:131], v[118:119] offset1:3
	ds_write2_b64 v93, v[122:123], v[126:127] offset0:6 offset1:9
	ds_write2_b64 v93, v[120:121], v[116:117] offset0:12 offset1:15
	v_add_f64 v[56:57], v[84:85], -v[88:89]
	v_add_f64 v[58:59], v[86:87], -v[90:91]
	s_and_saveexec_b32 s10, s1
	s_cbranch_execz .LBB0_23
; %bb.22:
	v_add_f64 v[0:1], v[0:1], v[2:3]
	v_add_f64 v[72:73], v[74:75], v[72:73]
	;; [unrolled: 1-line block ×7, first 2 shown]
	v_add_f64 v[0:1], v[0:1], -v[72:73]
	v_mul_u32_u24_sdwa v72, v105, v94 dst_sel:DWORD dst_unused:UNUSED_PAD src0_sel:WORD_0 src1_sel:DWORD
	v_lshlrev_b32_sdwa v73, v95, v106 dst_sel:DWORD dst_unused:UNUSED_PAD src0_sel:DWORD src1_sel:BYTE_0
	v_add3_u32 v72, 0, v72, v73
	ds_write2_b64 v72, v[84:85], v[76:77] offset1:3
	ds_write2_b64 v72, v[74:75], v[0:1] offset0:6 offset1:9
	ds_write2_b64 v72, v[56:57], v[58:59] offset0:12 offset1:15
.LBB0_23:
	s_or_b32 exec_lo, exec_lo, s10
	v_add_f64 v[0:1], v[54:55], v[30:31]
	v_add_f64 v[72:73], v[44:45], v[66:67]
	;; [unrolled: 1-line block ×4, first 2 shown]
	v_add_f64 v[50:51], v[50:51], -v[62:63]
	v_add_f64 v[38:39], v[46:47], v[38:39]
	v_mul_f64 v[46:47], v[70:71], 0.5
	v_add_f64 v[44:45], v[20:21], v[44:45]
	v_add_f64 v[40:41], v[48:49], v[40:41]
	v_add_f64 v[42:43], v[42:43], -v[60:61]
	v_mul_f64 v[24:25], v[24:25], -0.5
	v_add_f64 v[6:7], v[2:3], -v[6:7]
	v_mul_f64 v[48:49], v[80:81], 0.5
	v_mul_f64 v[60:61], v[82:83], -0.5
	v_mul_f64 v[28:29], v[28:29], -0.5
	v_mul_f64 v[16:17], v[16:17], 0.5
	v_lshl_add_u32 v100, v108, 3, 0
	v_add_nc_u32_e32 v101, 0x800, v112
	v_add_nc_u32_e32 v102, 0x1000, v112
	;; [unrolled: 1-line block ×3, first 2 shown]
	s_waitcnt lgkmcnt(0)
	s_barrier
	v_fma_f64 v[18:19], v[0:1], -0.5, v[18:19]
	v_fma_f64 v[20:21], v[72:73], -0.5, v[20:21]
	;; [unrolled: 1-line block ×3, first 2 shown]
	v_add_f64 v[54:55], v[54:55], v[30:31]
	buffer_gl0_inv
	v_add_f64 v[70:71], v[38:39], v[34:35]
	v_fma_f64 v[72:73], v[14:15], s[6:7], v[46:47]
	v_add_f64 v[66:67], v[44:45], v[66:67]
	v_add_f64 v[74:75], v[40:41], v[36:37]
	v_add_nc_u32_e32 v46, 0x400, v100
	v_fma_f64 v[12:13], v[12:13], s[6:7], v[24:25]
	ds_read2_b64 v[0:3], v112 offset1:54
	v_fma_f64 v[34:35], v[22:23], s[6:7], v[48:49]
	v_fma_f64 v[40:41], v[78:79], s[6:7], v[60:61]
	v_fma_f64 v[10:11], v[10:11], s[6:7], v[28:29]
	v_fma_f64 v[80:81], v[8:9], s[6:7], v[16:17]
	ds_read2_b64 v[36:39], v100 offset0:108 offset1:162
	v_fma_f64 v[76:77], v[50:51], s[6:7], v[18:19]
	v_fma_f64 v[24:25], v[42:43], s[6:7], v[20:21]
	;; [unrolled: 1-line block ×6, first 2 shown]
	ds_read2_b64 v[18:21], v101 offset0:68 offset1:122
	ds_read2_b64 v[28:31], v101 offset0:176 offset1:230
	;; [unrolled: 1-line block ×4, first 2 shown]
	v_add_f64 v[47:48], v[54:55], v[70:71]
	v_add_f64 v[54:55], v[54:55], -v[70:71]
	v_add_f64 v[70:71], v[66:67], v[74:75]
	v_add_f64 v[66:67], v[66:67], -v[74:75]
	;; [unrolled: 2-line block ×4, first 2 shown]
	v_add_f64 v[62:63], v[44:45], -v[40:41]
	v_add_f64 v[78:79], v[50:51], v[10:11]
	v_add_f64 v[49:50], v[50:51], -v[10:11]
	v_add_f64 v[84:85], v[82:83], v[12:13]
	v_add_f64 v[80:81], v[24:25], -v[80:81]
	v_add_f64 v[82:83], v[82:83], -v[12:13]
	ds_read2_b64 v[10:13], v103 offset0:116 offset1:170
	ds_read2_b64 v[22:25], v46 offset0:88 offset1:142
	s_waitcnt lgkmcnt(0)
	s_barrier
	buffer_gl0_inv
	ds_write2_b64 v92, v[47:48], v[74:75] offset1:3
	ds_write2_b64 v92, v[78:79], v[54:55] offset0:6 offset1:9
	ds_write2_b64 v92, v[72:73], v[49:50] offset0:12 offset1:15
	ds_write2_b64 v93, v[70:71], v[76:77] offset1:3
	ds_write2_b64 v93, v[84:85], v[66:67] offset0:6 offset1:9
	ds_write2_b64 v93, v[80:81], v[82:83] offset0:12 offset1:15
	s_and_saveexec_b32 s4, s1
	s_cbranch_execz .LBB0_25
; %bb.24:
	v_add_f64 v[4:5], v[4:5], v[68:69]
	v_add_f64 v[32:33], v[64:65], v[32:33]
	;; [unrolled: 1-line block ×7, first 2 shown]
	v_add_f64 v[4:5], v[4:5], -v[26:27]
	v_mov_b32_e32 v26, 0x90
	v_mov_b32_e32 v27, 3
	v_mul_u32_u24_sdwa v26, v105, v26 dst_sel:DWORD dst_unused:UNUSED_PAD src0_sel:WORD_0 src1_sel:DWORD
	v_lshlrev_b32_sdwa v27, v27, v106 dst_sel:DWORD dst_unused:UNUSED_PAD src0_sel:DWORD src1_sel:BYTE_0
	v_add3_u32 v26, 0, v26, v27
	ds_write2_b64 v26, v[40:41], v[32:33] offset1:3
	ds_write2_b64 v26, v[34:35], v[4:5] offset0:6 offset1:9
	ds_write2_b64 v26, v[60:61], v[62:63] offset0:12 offset1:15
.LBB0_25:
	s_or_b32 exec_lo, exec_lo, s4
	v_mul_lo_u16 v4, v113, 57
	v_mov_b32_e32 v26, 15
	s_waitcnt lgkmcnt(0)
	s_barrier
	buffer_gl0_inv
	v_lshrrev_b16 v4, 10, v4
	s_mov_b32 s12, 0x667f3bcd
	s_mov_b32 s13, 0x3fe6a09e
	;; [unrolled: 1-line block ×4, first 2 shown]
	v_mul_lo_u16 v5, v4, 18
	s_mov_b32 s4, 0xcf328d46
	s_mov_b32 s5, 0xbfed906b
	;; [unrolled: 1-line block ×4, first 2 shown]
	v_sub_nc_u16 v5, v108, v5
	s_mov_b32 s6, 0xa6aea964
	s_mov_b32 s7, 0x3fd87de2
	;; [unrolled: 1-line block ×4, first 2 shown]
	v_mul_u32_u24_sdwa v26, v5, v26 dst_sel:DWORD dst_unused:UNUSED_PAD src0_sel:BYTE_0 src1_sel:DWORD
	v_lshlrev_b32_e32 v26, 4, v26
	s_clause 0xe
	global_load_dwordx4 v[40:43], v26, s[8:9] offset:256
	global_load_dwordx4 v[47:50], v26, s[8:9] offset:272
	;; [unrolled: 1-line block ×15, first 2 shown]
	ds_read2_b64 v[121:124], v100 offset0:108 offset1:162
	ds_read2_b64 v[125:128], v46 offset0:88 offset1:142
	;; [unrolled: 1-line block ×3, first 2 shown]
	s_waitcnt vmcnt(14) lgkmcnt(2)
	v_mul_f64 v[26:27], v[121:122], v[42:43]
	v_mul_f64 v[42:43], v[36:37], v[42:43]
	s_waitcnt vmcnt(13)
	v_mul_f64 v[44:45], v[123:124], v[49:50]
	v_mul_f64 v[49:50], v[38:39], v[49:50]
	s_waitcnt vmcnt(12) lgkmcnt(1)
	v_mul_f64 v[105:106], v[125:126], v[53:54]
	s_waitcnt vmcnt(10) lgkmcnt(0)
	v_mul_f64 v[135:136], v[129:130], v[70:71]
	v_fma_f64 v[26:27], v[36:37], v[40:41], v[26:27]
	v_mul_f64 v[36:37], v[22:23], v[53:54]
	v_fma_f64 v[133:134], v[121:122], v[40:41], -v[42:43]
	v_mul_f64 v[40:41], v[127:128], v[66:67]
	v_fma_f64 v[53:54], v[38:39], v[47:48], v[44:45]
	v_mul_f64 v[38:39], v[24:25], v[66:67]
	v_fma_f64 v[66:67], v[123:124], v[47:48], -v[49:50]
	ds_read2_b64 v[46:49], v102 offset0:28 offset1:82
	ds_read2_b64 v[121:124], v102 offset0:136 offset1:190
	v_fma_f64 v[22:23], v[22:23], v[51:52], v[105:106]
	v_fma_f64 v[44:45], v[125:126], v[51:52], -v[36:37]
	v_mul_f64 v[36:37], v[18:19], v[70:71]
	s_waitcnt vmcnt(9)
	v_mul_f64 v[50:51], v[20:21], v[74:75]
	v_mul_f64 v[70:71], v[131:132], v[74:75]
	s_waitcnt vmcnt(8) lgkmcnt(1)
	v_mul_f64 v[74:75], v[46:47], v[78:79]
	v_mul_f64 v[78:79], v[14:15], v[78:79]
	s_waitcnt vmcnt(7) lgkmcnt(0)
	v_mul_f64 v[105:106], v[121:122], v[82:83]
	v_mul_f64 v[82:83], v[6:7], v[82:83]
	v_fma_f64 v[24:25], v[24:25], v[64:65], v[40:41]
	v_fma_f64 v[64:65], v[127:128], v[64:65], -v[38:39]
	ds_read2_b64 v[40:43], v101 offset0:176 offset1:230
	v_fma_f64 v[125:126], v[18:19], v[68:69], v[135:136]
	s_waitcnt vmcnt(6)
	v_mul_f64 v[127:128], v[48:49], v[86:87]
	v_fma_f64 v[68:69], v[129:130], v[68:69], -v[36:37]
	ds_read2_b64 v[36:39], v112 offset1:54
	v_fma_f64 v[70:71], v[20:21], v[72:73], v[70:71]
	v_fma_f64 v[14:15], v[14:15], v[76:77], v[74:75]
	s_waitcnt vmcnt(3)
	v_mul_f64 v[74:75], v[12:13], v[98:99]
	ds_read2_b64 v[18:21], v103 offset0:116 offset1:170
	v_fma_f64 v[50:51], v[131:132], v[72:73], -v[50:51]
	v_mul_f64 v[72:73], v[8:9], v[90:91]
	v_mul_f64 v[129:130], v[10:11], v[94:95]
	v_fma_f64 v[46:47], v[46:47], v[76:77], -v[78:79]
	s_waitcnt vmcnt(2) lgkmcnt(2)
	v_mul_f64 v[76:77], v[40:41], v[34:35]
	v_fma_f64 v[6:7], v[6:7], v[80:81], v[105:106]
	v_fma_f64 v[78:79], v[121:122], v[80:81], -v[82:83]
	s_waitcnt vmcnt(0)
	v_mul_f64 v[82:83], v[42:43], v[119:120]
	v_fma_f64 v[105:106], v[16:17], v[84:85], v[127:128]
	v_mul_f64 v[16:17], v[16:17], v[86:87]
	v_mul_f64 v[86:87], v[2:3], v[115:116]
	;; [unrolled: 1-line block ×3, first 2 shown]
	s_waitcnt lgkmcnt(0)
	s_barrier
	buffer_gl0_inv
	v_mul_f64 v[80:81], v[38:39], v[115:116]
	v_mul_f64 v[94:95], v[18:19], v[94:95]
	v_fma_f64 v[74:75], v[20:21], v[96:97], -v[74:75]
	v_mul_f64 v[20:21], v[20:21], v[98:99]
	v_mul_f64 v[98:99], v[30:31], v[119:120]
	v_fma_f64 v[72:73], v[123:124], v[88:89], -v[72:73]
	v_fma_f64 v[18:19], v[18:19], v[92:93], -v[129:130]
	v_add_f64 v[14:15], v[26:27], -v[14:15]
	v_fma_f64 v[76:77], v[28:29], v[32:33], v[76:77]
	v_fma_f64 v[16:17], v[48:49], v[84:85], -v[16:17]
	v_fma_f64 v[8:9], v[8:9], v[88:89], v[90:91]
	v_fma_f64 v[2:3], v[2:3], v[113:114], v[80:81]
	;; [unrolled: 1-line block ×3, first 2 shown]
	v_fma_f64 v[82:83], v[38:39], v[113:114], -v[86:87]
	v_add_f64 v[30:31], v[44:45], -v[78:79]
	v_fma_f64 v[10:11], v[10:11], v[92:93], v[94:95]
	v_add_f64 v[74:75], v[50:51], -v[74:75]
	v_fma_f64 v[12:13], v[12:13], v[96:97], v[20:21]
	v_fma_f64 v[42:43], v[42:43], v[117:118], -v[98:99]
	v_add_f64 v[72:73], v[64:65], -v[72:73]
	v_add_f64 v[18:19], v[68:69], -v[18:19]
	;; [unrolled: 1-line block ×6, first 2 shown]
	v_fma_f64 v[26:27], v[26:27], 2.0, -v[14:15]
	v_add_nc_u32_e32 v106, 0xc00, v112
	v_add_f64 v[16:17], v[66:67], -v[16:17]
	v_add_f64 v[8:9], v[24:25], -v[8:9]
	;; [unrolled: 1-line block ×4, first 2 shown]
	v_fma_f64 v[50:51], v[50:51], 2.0, -v[74:75]
	v_add_f64 v[12:13], v[70:71], -v[12:13]
	v_add_f64 v[78:79], v[82:83], -v[42:43]
	v_fma_f64 v[64:65], v[64:65], 2.0, -v[72:73]
	v_add_f64 v[84:85], v[14:15], v[18:19]
	v_fma_f64 v[22:23], v[22:23], 2.0, -v[38:39]
	v_add_f64 v[80:81], v[20:21], v[30:31]
	v_add_f64 v[88:89], v[76:77], v[74:75]
	v_fma_f64 v[0:1], v[0:1], 2.0, -v[20:21]
	v_fma_f64 v[42:43], v[133:134], 2.0, -v[6:7]
	;; [unrolled: 1-line block ×6, first 2 shown]
	v_add_f64 v[86:87], v[48:49], v[72:73]
	v_fma_f64 v[2:3], v[2:3], 2.0, -v[48:49]
	v_fma_f64 v[46:47], v[125:126], 2.0, -v[10:11]
	v_add_f64 v[10:11], v[6:7], -v[10:11]
	v_fma_f64 v[66:67], v[70:71], 2.0, -v[12:13]
	v_add_f64 v[8:9], v[78:79], -v[8:9]
	v_add_f64 v[12:13], v[16:17], -v[12:13]
	v_fma_f64 v[14:15], v[14:15], 2.0, -v[84:85]
	v_fma_f64 v[74:75], v[82:83], 2.0, -v[78:79]
	;; [unrolled: 1-line block ×4, first 2 shown]
	v_add_f64 v[22:23], v[0:1], -v[22:23]
	v_fma_f64 v[72:73], v[84:85], s[12:13], v[80:81]
	v_fma_f64 v[68:69], v[48:49], 2.0, -v[86:87]
	v_add_f64 v[48:49], v[26:27], -v[46:47]
	v_add_f64 v[46:47], v[42:43], -v[18:19]
	;; [unrolled: 1-line block ×3, first 2 shown]
	v_fma_f64 v[24:25], v[78:79], 2.0, -v[8:9]
	v_add_f64 v[76:77], v[52:53], -v[66:67]
	v_add_f64 v[78:79], v[54:55], -v[50:51]
	v_fma_f64 v[50:51], v[88:89], s[12:13], v[86:87]
	v_fma_f64 v[6:7], v[6:7], 2.0, -v[10:11]
	v_fma_f64 v[16:17], v[16:17], 2.0, -v[12:13]
	v_fma_f64 v[66:67], v[14:15], s[16:17], v[20:21]
	v_add_f64 v[64:65], v[74:75], -v[64:65]
	v_fma_f64 v[90:91], v[12:13], s[12:13], v[8:9]
	v_fma_f64 v[94:95], v[10:11], s[12:13], v[72:73]
	v_fma_f64 v[0:1], v[0:1], 2.0, -v[22:23]
	v_fma_f64 v[82:83], v[70:71], s[16:17], v[68:69]
	v_fma_f64 v[26:27], v[26:27], 2.0, -v[48:49]
	v_add_f64 v[92:93], v[22:23], v[46:47]
	v_fma_f64 v[2:3], v[2:3], 2.0, -v[18:19]
	v_fma_f64 v[72:73], v[52:53], 2.0, -v[76:77]
	v_add_f64 v[113:114], v[18:19], v[78:79]
	v_fma_f64 v[52:53], v[12:13], s[12:13], v[50:51]
	v_mul_f64 v[98:99], v[6:7], s[12:13]
	v_fma_f64 v[12:13], v[16:17], s[16:17], v[24:25]
	v_fma_f64 v[96:97], v[6:7], s[12:13], v[66:67]
	v_fma_f64 v[66:67], v[74:75], 2.0, -v[64:65]
	v_fma_f64 v[74:75], v[88:89], s[16:17], v[90:91]
	v_add_f64 v[115:116], v[64:65], -v[76:77]
	v_fma_f64 v[88:89], v[80:81], 2.0, -v[94:95]
	v_fma_f64 v[50:51], v[16:17], s[12:13], v[82:83]
	v_fma_f64 v[16:17], v[54:55], 2.0, -v[78:79]
	v_add_f64 v[26:27], v[0:1], -v[26:27]
	v_fma_f64 v[22:23], v[22:23], 2.0, -v[92:93]
	v_add_f64 v[54:55], v[2:3], -v[72:73]
	v_fma_f64 v[18:19], v[18:19], 2.0, -v[113:114]
	v_fma_f64 v[72:73], v[86:87], 2.0, -v[52:53]
	v_fma_f64 v[76:77], v[70:71], s[16:17], v[12:13]
	v_fma_f64 v[12:13], v[20:21], 2.0, -v[96:97]
	v_fma_f64 v[20:21], v[52:53], s[14:15], v[94:95]
	;; [unrolled: 2-line block ×3, first 2 shown]
	v_fma_f64 v[70:71], v[68:69], 2.0, -v[50:51]
	v_add_f64 v[78:79], v[66:67], -v[16:17]
	v_fma_f64 v[16:17], v[64:65], 2.0, -v[115:116]
	v_fma_f64 v[90:91], v[50:51], s[6:7], v[96:97]
	v_fma_f64 v[0:1], v[0:1], 2.0, -v[26:27]
	v_fma_f64 v[2:3], v[2:3], 2.0, -v[54:55]
	v_fma_f64 v[68:69], v[18:19], s[16:17], v[22:23]
	v_fma_f64 v[86:87], v[72:73], s[10:11], v[88:89]
	v_fma_f64 v[82:83], v[24:25], 2.0, -v[76:77]
	v_fma_f64 v[64:65], v[74:75], s[6:7], v[20:21]
	v_fma_f64 v[8:9], v[115:116], s[12:13], v[8:9]
	;; [unrolled: 1-line block ×3, first 2 shown]
	v_add_f64 v[20:21], v[26:27], v[78:79]
	v_fma_f64 v[119:120], v[76:77], s[14:15], v[90:91]
	v_mul_f64 v[90:91], v[115:116], s[12:13]
	v_add_f64 v[2:3], v[0:1], -v[2:3]
	v_fma_f64 v[68:69], v[16:17], s[12:13], v[68:69]
	v_fma_f64 v[117:118], v[80:81], s[14:15], v[86:87]
	v_mov_b32_e32 v86, 0x120
	v_fma_f64 v[121:122], v[94:95], 2.0, -v[64:65]
	v_mul_f64 v[94:95], v[84:85], s[12:13]
	v_mul_u32_u24_sdwa v4, v4, v86 dst_sel:DWORD dst_unused:UNUSED_PAD src0_sel:WORD_0 src1_sel:DWORD
	v_mul_f64 v[84:85], v[18:19], s[12:13]
	v_or_b32_sdwa v86, v4, v5 dst_sel:DWORD dst_unused:UNUSED_PAD src0_sel:DWORD src1_sel:BYTE_0
	v_fma_f64 v[4:5], v[92:93], 2.0, -v[8:9]
	v_fma_f64 v[24:25], v[82:83], s[6:7], v[24:25]
	v_fma_f64 v[26:27], v[26:27], 2.0, -v[20:21]
	v_mul_f64 v[92:93], v[14:15], s[12:13]
	v_fma_f64 v[125:126], v[96:97], 2.0, -v[119:120]
	v_lshl_add_u32 v105, v86, 3, 0
	v_mul_f64 v[96:97], v[10:11], s[12:13]
	v_mul_f64 v[86:87], v[113:114], s[12:13]
	v_fma_f64 v[0:1], v[0:1], 2.0, -v[2:3]
	v_fma_f64 v[22:23], v[22:23], 2.0, -v[68:69]
	;; [unrolled: 1-line block ×3, first 2 shown]
	v_add_nc_u32_e32 v107, 0x400, v105
	v_mul_f64 v[88:89], v[16:17], s[12:13]
	v_fma_f64 v[12:13], v[12:13], 2.0, -v[24:25]
	ds_write2_b64 v107, v[8:9], v[64:65] offset0:124 offset1:142
	ds_write2_b64 v105, v[4:5], v[121:122] offset0:108 offset1:126
	;; [unrolled: 1-line block ×7, first 2 shown]
	ds_write2_b64 v105, v[0:1], v[12:13] offset1:18
	s_waitcnt lgkmcnt(0)
	s_barrier
	buffer_gl0_inv
	ds_read2_b64 v[0:3], v112 offset1:54
	ds_read2_b64 v[8:11], v101 offset0:32 offset1:86
	ds_read2_b64 v[24:27], v106 offset0:120 offset1:192
	;; [unrolled: 1-line block ×6, first 2 shown]
	ds_read_b64 v[68:69], v100 offset:1728
	s_and_saveexec_b32 s1, vcc_lo
	s_cbranch_execz .LBB0_27
; %bb.26:
	ds_read_b64 v[56:57], v112 offset:4464
	ds_read_b64 v[64:65], v100 offset:2160
	;; [unrolled: 1-line block ×3, first 2 shown]
.LBB0_27:
	s_or_b32 exec_lo, exec_lo, s1
	v_mul_f64 v[28:29], v[28:29], v[34:35]
	v_fma_f64 v[30:31], v[44:45], 2.0, -v[30:31]
	v_fma_f64 v[42:43], v[42:43], 2.0, -v[46:47]
	s_waitcnt lgkmcnt(0)
	s_barrier
	buffer_gl0_inv
	v_fma_f64 v[28:29], v[40:41], v[32:33], -v[28:29]
	v_add_f64 v[28:29], v[36:37], -v[28:29]
	v_add_f64 v[32:33], v[28:29], -v[38:39]
	v_fma_f64 v[34:35], v[36:37], 2.0, -v[28:29]
	v_fma_f64 v[28:29], v[28:29], 2.0, -v[32:33]
	v_add_f64 v[30:31], v[34:35], -v[30:31]
	v_add_f64 v[36:37], v[32:33], v[96:97]
	v_add_f64 v[38:39], v[28:29], -v[98:99]
	v_add_f64 v[40:41], v[30:31], -v[48:49]
	;; [unrolled: 1-line block ×3, first 2 shown]
	v_fma_f64 v[34:35], v[34:35], 2.0, -v[30:31]
	v_fma_f64 v[48:49], v[66:67], 2.0, -v[78:79]
	v_add_f64 v[38:39], v[38:39], -v[92:93]
	v_fma_f64 v[30:31], v[30:31], 2.0, -v[40:41]
	v_fma_f64 v[32:33], v[32:33], 2.0, -v[36:37]
	v_add_f64 v[42:43], v[34:35], -v[42:43]
	v_add_f64 v[44:45], v[40:41], v[90:91]
	v_fma_f64 v[46:47], v[74:75], s[14:15], v[36:37]
	v_fma_f64 v[28:29], v[28:29], 2.0, -v[38:39]
	v_add_f64 v[74:75], v[30:31], -v[88:89]
	v_fma_f64 v[78:79], v[80:81], s[10:11], v[32:33]
	v_fma_f64 v[76:77], v[76:77], s[6:7], v[38:39]
	v_fma_f64 v[34:35], v[34:35], 2.0, -v[42:43]
	v_add_f64 v[44:45], v[44:45], -v[86:87]
	v_fma_f64 v[66:67], v[52:53], s[10:11], v[46:47]
	v_add_f64 v[46:47], v[42:43], -v[54:55]
	v_fma_f64 v[80:81], v[82:83], s[4:5], v[28:29]
	;; [unrolled: 2-line block ×3, first 2 shown]
	v_fma_f64 v[50:51], v[50:51], s[4:5], v[76:77]
	v_add_f64 v[48:49], v[34:35], -v[48:49]
	v_fma_f64 v[40:41], v[40:41], 2.0, -v[44:45]
	v_fma_f64 v[36:37], v[36:37], 2.0, -v[66:67]
	;; [unrolled: 1-line block ×3, first 2 shown]
	v_add_nc_u32_e32 v72, 0x400, v105
	v_add_nc_u32_e32 v73, 0x800, v112
	;; [unrolled: 1-line block ×4, first 2 shown]
	v_fma_f64 v[70:71], v[70:71], s[10:11], v[80:81]
	v_fma_f64 v[30:31], v[30:31], 2.0, -v[52:53]
	v_fma_f64 v[32:33], v[32:33], 2.0, -v[54:55]
	;; [unrolled: 1-line block ×5, first 2 shown]
	ds_write2_b64 v72, v[44:45], v[66:67] offset0:124 offset1:142
	ds_write2_b64 v105, v[40:41], v[36:37] offset0:108 offset1:126
	;; [unrolled: 1-line block ×7, first 2 shown]
	ds_write2_b64 v105, v[34:35], v[28:29] offset1:18
	s_waitcnt lgkmcnt(0)
	s_barrier
	buffer_gl0_inv
	ds_read2_b64 v[28:31], v112 offset1:54
	ds_read2_b64 v[36:39], v73 offset0:32 offset1:86
	ds_read2_b64 v[52:55], v106 offset0:120 offset1:192
	;; [unrolled: 1-line block ×6, first 2 shown]
	ds_read_b64 v[72:73], v100 offset:1728
	s_and_saveexec_b32 s1, vcc_lo
	s_cbranch_execz .LBB0_29
; %bb.28:
	ds_read_b64 v[60:61], v112 offset:4464
	ds_read_b64 v[66:67], v100 offset:2160
	;; [unrolled: 1-line block ×3, first 2 shown]
.LBB0_29:
	s_or_b32 exec_lo, exec_lo, s1
	s_and_saveexec_b32 s1, s0
	s_cbranch_execz .LBB0_32
; %bb.30:
	v_add_nc_u32_e32 v80, 0xd8, v108
	v_mov_b32_e32 v71, 0
	v_lshlrev_b32_e32 v74, 1, v108
	s_mov_b32 s4, 0xe8584caa
	s_mov_b32 s5, 0xbfebb67a
	v_lshlrev_b32_e32 v70, 1, v80
	v_mov_b32_e32 v75, v71
	s_mov_b32 s7, 0x3febb67a
	s_mov_b32 s6, s4
	v_lshlrev_b64 v[76:77], 4, v[70:71]
	v_add_nc_u32_e32 v70, 0x144, v74
	v_lshlrev_b64 v[74:75], 4, v[74:75]
	v_lshlrev_b64 v[78:79], 4, v[70:71]
	v_add_co_u32 v81, s0, s8, v76
	v_add_co_ci_u32_e64 v82, s0, s9, v77, s0
	v_add_co_u32 v89, s0, s8, v74
	v_add_co_ci_u32_e64 v90, s0, s9, v75, s0
	;; [unrolled: 2-line block ×6, first 2 shown]
	v_lshlrev_b32_e32 v70, 1, v104
	s_clause 0x1
	global_load_dwordx4 v[81:84], v[74:75], off offset:464
	global_load_dwordx4 v[85:88], v[85:86], off offset:16
	v_add_co_u32 v74, s0, 0x11d0, v91
	v_add_co_ci_u32_e64 v75, s0, 0, v92, s0
	v_lshlrev_b64 v[78:79], 4, v[70:71]
	v_add_co_u32 v93, s0, 0x1000, v89
	v_add_co_ci_u32_e64 v94, s0, 0, v90, s0
	v_add_co_u32 v101, s0, 0x1000, v91
	v_add_co_ci_u32_e64 v102, s0, 0, v92, s0
	v_lshlrev_b32_e32 v70, 1, v109
	v_add_co_u32 v78, s0, s8, v78
	v_add_co_ci_u32_e64 v79, s0, s9, v79, s0
	s_clause 0x1
	global_load_dwordx4 v[89:92], v[76:77], off offset:16
	global_load_dwordx4 v[93:96], v[93:94], off offset:464
	v_add_co_u32 v76, s0, 0x1000, v78
	s_clause 0x1
	global_load_dwordx4 v[97:100], v[74:75], off offset:16
	global_load_dwordx4 v[101:104], v[101:102], off offset:464
	v_lshlrev_b64 v[74:75], 4, v[70:71]
	v_add_co_ci_u32_e64 v77, s0, 0, v79, s0
	v_add_co_u32 v78, s0, 0x11d0, v78
	v_add_co_ci_u32_e64 v79, s0, 0, v79, s0
	v_add_co_u32 v70, s0, s8, v74
	v_add_co_ci_u32_e64 v105, s0, s9, v75, s0
	s_clause 0x1
	global_load_dwordx4 v[112:115], v[76:77], off offset:464
	global_load_dwordx4 v[116:119], v[78:79], off offset:16
	v_add_co_u32 v74, s0, 0x1000, v70
	v_add_co_ci_u32_e64 v75, s0, 0, v105, s0
	v_add_co_u32 v76, s0, 0x11d0, v70
	v_add_co_ci_u32_e64 v77, s0, 0, v105, s0
	s_clause 0x1
	global_load_dwordx4 v[120:123], v[74:75], off offset:464
	global_load_dwordx4 v[124:127], v[76:77], off offset:16
	v_mov_b32_e32 v109, v71
	v_add_co_u32 v107, s0, s2, v110
	v_mul_hi_u32 v70, 0x38e38e39, v80
	v_add_co_ci_u32_e64 v111, s0, s3, v111, s0
	v_lshlrev_b64 v[74:75], 4, v[108:109]
	v_lshrrev_b32_e32 v70, 6, v70
	v_add_co_u32 v74, s0, v107, v74
	v_add_co_ci_u32_e64 v75, s0, v111, v75, s0
	v_mad_u32_u24 v70, 0x240, v70, v80
	v_add_co_u32 v76, s0, 0x1000, v74
	v_add_co_ci_u32_e64 v77, s0, 0, v75, s0
	v_add_co_u32 v78, s0, 0x2000, v74
	v_add_co_ci_u32_e64 v79, s0, 0, v75, s0
	;; [unrolled: 2-line block ×3, first 2 shown]
	v_add_co_u32 v132, s0, 0x2800, v74
	v_lshlrev_b64 v[134:135], 4, v[70:71]
	v_add_co_ci_u32_e64 v133, s0, 0, v75, s0
	s_waitcnt vmcnt(9)
	v_mul_f64 v[105:106], v[24:25], v[83:84]
	s_waitcnt lgkmcnt(5)
	v_mul_f64 v[83:84], v[52:53], v[83:84]
	s_waitcnt vmcnt(8)
	v_mul_f64 v[130:131], v[22:23], v[87:88]
	s_waitcnt lgkmcnt(1)
	v_mul_f64 v[87:88], v[50:51], v[87:88]
	s_waitcnt vmcnt(7)
	v_mul_f64 v[109:110], v[26:27], v[91:92]
	v_mul_f64 v[91:92], v[54:55], v[91:92]
	s_waitcnt vmcnt(6)
	v_mul_f64 v[136:137], v[8:9], v[95:96]
	;; [unrolled: 3-line block ×4, first 2 shown]
	v_fma_f64 v[52:53], v[52:53], v[81:82], -v[105:106]
	v_fma_f64 v[24:25], v[24:25], v[81:82], v[83:84]
	v_mul_f64 v[80:81], v[46:47], v[103:104]
	v_fma_f64 v[50:51], v[50:51], v[85:86], -v[130:131]
	v_fma_f64 v[22:23], v[22:23], v[85:86], v[87:88]
	s_waitcnt vmcnt(3)
	v_mul_f64 v[82:83], v[16:17], v[114:115]
	s_waitcnt vmcnt(2)
	v_mul_f64 v[103:104], v[14:15], v[118:119]
	v_mul_f64 v[105:106], v[44:45], v[114:115]
	v_fma_f64 v[54:55], v[54:55], v[89:90], -v[109:110]
	v_fma_f64 v[26:27], v[26:27], v[89:90], v[91:92]
	v_mul_f64 v[89:90], v[42:43], v[118:119]
	v_fma_f64 v[36:37], v[36:37], v[93:94], -v[136:137]
	s_waitcnt vmcnt(1)
	v_mul_f64 v[91:92], v[10:11], v[122:123]
	s_waitcnt vmcnt(0)
	v_mul_f64 v[109:110], v[12:13], v[126:127]
	v_mul_f64 v[114:115], v[38:39], v[122:123]
	v_mul_f64 v[84:85], v[40:41], v[126:127]
	v_fma_f64 v[8:9], v[8:9], v[93:94], v[95:96]
	v_fma_f64 v[48:49], v[48:49], v[97:98], -v[138:139]
	v_fma_f64 v[20:21], v[20:21], v[97:98], v[99:100]
	v_fma_f64 v[46:47], v[46:47], v[101:102], -v[140:141]
	v_fma_f64 v[18:19], v[18:19], v[101:102], v[80:81]
	v_add_co_u32 v118, s0, 0x800, v74
	v_fma_f64 v[44:45], v[44:45], v[112:113], -v[82:83]
	v_fma_f64 v[42:43], v[42:43], v[116:117], -v[103:104]
	v_fma_f64 v[16:17], v[16:17], v[112:113], v[105:106]
	v_add_co_ci_u32_e64 v119, s0, 0, v75, s0
	v_add_co_u32 v93, s0, v107, v134
	v_add_co_ci_u32_e64 v94, s0, v111, v135, s0
	v_fma_f64 v[14:15], v[14:15], v[116:117], v[89:90]
	v_add_f64 v[86:87], v[36:37], v[54:55]
	v_fma_f64 v[38:39], v[38:39], v[120:121], -v[91:92]
	v_fma_f64 v[40:41], v[40:41], v[124:125], -v[109:110]
	v_fma_f64 v[10:11], v[10:11], v[120:121], v[114:115]
	v_fma_f64 v[80:81], v[12:13], v[124:125], v[84:85]
	v_add_f64 v[95:96], v[28:29], v[36:37]
	v_add_f64 v[97:98], v[36:37], -v[54:55]
	v_add_f64 v[36:37], v[8:9], v[26:27]
	s_waitcnt lgkmcnt(0)
	v_add_f64 v[84:85], v[72:73], v[52:53]
	v_add_f64 v[101:102], v[46:47], v[48:49]
	v_add_f64 v[105:106], v[18:19], v[20:21]
	v_add_f64 v[12:13], v[52:53], v[50:51]
	v_add_f64 v[82:83], v[24:25], -v[22:23]
	v_add_f64 v[88:89], v[52:53], -v[50:51]
	v_add_f64 v[52:53], v[24:25], v[22:23]
	v_add_f64 v[24:25], v[68:69], v[24:25]
	;; [unrolled: 1-line block ×4, first 2 shown]
	v_add_f64 v[103:104], v[18:19], -v[20:21]
	v_add_f64 v[109:110], v[34:35], v[46:47]
	v_add_f64 v[18:19], v[6:7], v[18:19]
	;; [unrolled: 1-line block ×6, first 2 shown]
	v_add_f64 v[130:131], v[44:45], -v[42:43]
	v_add_f64 v[122:123], v[10:11], v[80:81]
	v_add_f64 v[44:45], v[30:31], v[38:39]
	v_add_f64 v[134:135], v[2:3], v[10:11]
	v_add_f64 v[90:91], v[8:9], -v[26:27]
	v_fma_f64 v[86:87], v[86:87], -0.5, v[28:29]
	v_fma_f64 v[0:1], v[36:37], -0.5, v[0:1]
	v_add_f64 v[46:47], v[46:47], -v[48:49]
	v_add_f64 v[138:139], v[38:39], -v[40:41]
	v_add_f64 v[8:9], v[84:85], v[50:51]
	v_fma_f64 v[38:39], v[101:102], -0.5, v[34:35]
	v_fma_f64 v[50:51], v[105:106], -0.5, v[6:7]
	v_add_f64 v[120:121], v[16:17], -v[14:15]
	v_fma_f64 v[72:73], v[12:13], -0.5, v[72:73]
	v_add_f64 v[6:7], v[24:25], v[22:23]
	v_fma_f64 v[22:23], v[111:112], -0.5, v[32:33]
	v_add_f64 v[12:13], v[95:96], v[54:55]
	v_add_f64 v[136:137], v[10:11], -v[80:81]
	v_fma_f64 v[54:55], v[113:114], -0.5, v[4:5]
	v_add_f64 v[10:11], v[99:100], v[26:27]
	v_fma_f64 v[68:69], v[52:53], -0.5, v[68:69]
	v_fma_f64 v[26:27], v[115:116], -0.5, v[30:31]
	v_add_f64 v[4:5], v[109:110], v[48:49]
	v_fma_f64 v[95:96], v[122:123], -0.5, v[2:3]
	v_add_f64 v[2:3], v[18:19], v[20:21]
	v_add_f64 v[16:17], v[124:125], v[42:43]
	;; [unrolled: 1-line block ×5, first 2 shown]
	v_fma_f64 v[36:37], v[90:91], s[6:7], v[86:87]
	v_fma_f64 v[34:35], v[97:98], s[4:5], v[0:1]
	;; [unrolled: 1-line block ×20, first 2 shown]
	v_add_co_u32 v0, s0, 0x1000, v93
	v_add_co_ci_u32_e64 v1, s0, 0, v94, s0
	v_add_co_u32 v54, s0, 0x2000, v93
	v_add_co_ci_u32_e64 v55, s0, 0, v94, s0
	global_store_dwordx4 v[74:75], v[10:13], off
	global_store_dwordx4 v[118:119], v[2:5], off offset:544
	global_store_dwordx4 v[74:75], v[14:17], off offset:1728
	global_store_dwordx4 v[74:75], v[18:21], off offset:864
	global_store_dwordx4 v[76:77], v[34:37], off offset:512
	global_store_dwordx4 v[78:79], v[30:33], off offset:1024
	global_store_dwordx4 v[128:129], v[42:45], off offset:1056
	global_store_dwordx4 v[132:133], v[38:41], off offset:1568
	global_store_dwordx4 v[128:129], v[50:53], off offset:192
	global_store_dwordx4 v[132:133], v[46:49], off offset:704
	global_store_dwordx4 v[76:77], v[84:87], off offset:1376
	global_store_dwordx4 v[78:79], v[80:83], off offset:1888
	global_store_dwordx4 v[93:94], v[6:9], off
	global_store_dwordx4 v[0:1], v[26:29], off offset:512
	global_store_dwordx4 v[54:55], v[22:25], off offset:1024
	s_and_b32 exec_lo, exec_lo, vcc_lo
	s_cbranch_execz .LBB0_32
; %bb.31:
	v_mov_b32_e32 v0, 0x10e
	v_cndmask_b32_e32 v0, 0xffffffee, v0, vcc_lo
	v_add_lshl_u32 v70, v108, v0, 1
	v_lshlrev_b64 v[0:1], 4, v[70:71]
	v_add_co_u32 v2, vcc_lo, s8, v0
	v_add_co_ci_u32_e32 v3, vcc_lo, s9, v1, vcc_lo
	v_add_co_u32 v0, vcc_lo, 0x1000, v2
	v_add_co_ci_u32_e32 v1, vcc_lo, 0, v3, vcc_lo
	;; [unrolled: 2-line block ×3, first 2 shown]
	s_clause 0x1
	global_load_dwordx4 v[0:3], v[0:1], off offset:464
	global_load_dwordx4 v[4:7], v[4:5], off offset:16
	s_waitcnt vmcnt(1)
	v_mul_f64 v[8:9], v[60:61], v[2:3]
	s_waitcnt vmcnt(0)
	v_mul_f64 v[10:11], v[62:63], v[6:7]
	v_mul_f64 v[2:3], v[56:57], v[2:3]
	;; [unrolled: 1-line block ×3, first 2 shown]
	v_fma_f64 v[8:9], v[56:57], v[0:1], v[8:9]
	v_fma_f64 v[10:11], v[58:59], v[4:5], v[10:11]
	v_fma_f64 v[0:1], v[60:61], v[0:1], -v[2:3]
	v_fma_f64 v[2:3], v[62:63], v[4:5], -v[6:7]
	v_add_f64 v[12:13], v[64:65], v[8:9]
	v_add_f64 v[4:5], v[8:9], v[10:11]
	;; [unrolled: 1-line block ×4, first 2 shown]
	v_add_f64 v[14:15], v[0:1], -v[2:3]
	v_add_f64 v[20:21], v[8:9], -v[10:11]
	v_add_f64 v[0:1], v[12:13], v[10:11]
	v_fma_f64 v[18:19], v[4:5], -0.5, v[64:65]
	v_add_f64 v[2:3], v[16:17], v[2:3]
	v_fma_f64 v[22:23], v[6:7], -0.5, v[66:67]
	v_add_co_u32 v12, vcc_lo, 0x3000, v74
	v_add_co_ci_u32_e32 v13, vcc_lo, 0, v75, vcc_lo
	v_fma_f64 v[4:5], v[14:15], s[4:5], v[18:19]
	v_fma_f64 v[8:9], v[14:15], s[6:7], v[18:19]
	;; [unrolled: 1-line block ×4, first 2 shown]
	global_store_dwordx4 v[76:77], v[0:3], off offset:224
	global_store_dwordx4 v[78:79], v[4:7], off offset:736
	;; [unrolled: 1-line block ×3, first 2 shown]
.LBB0_32:
	s_endpgm
	.section	.rodata,"a",@progbits
	.p2align	6, 0x0
	.amdhsa_kernel fft_rtc_back_len864_factors_3_6_16_3_wgs_54_tpt_54_halfLds_dp_ip_CI_unitstride_sbrr_dirReg
		.amdhsa_group_segment_fixed_size 0
		.amdhsa_private_segment_fixed_size 0
		.amdhsa_kernarg_size 88
		.amdhsa_user_sgpr_count 6
		.amdhsa_user_sgpr_private_segment_buffer 1
		.amdhsa_user_sgpr_dispatch_ptr 0
		.amdhsa_user_sgpr_queue_ptr 0
		.amdhsa_user_sgpr_kernarg_segment_ptr 1
		.amdhsa_user_sgpr_dispatch_id 0
		.amdhsa_user_sgpr_flat_scratch_init 0
		.amdhsa_user_sgpr_private_segment_size 0
		.amdhsa_wavefront_size32 1
		.amdhsa_uses_dynamic_stack 0
		.amdhsa_system_sgpr_private_segment_wavefront_offset 0
		.amdhsa_system_sgpr_workgroup_id_x 1
		.amdhsa_system_sgpr_workgroup_id_y 0
		.amdhsa_system_sgpr_workgroup_id_z 0
		.amdhsa_system_sgpr_workgroup_info 0
		.amdhsa_system_vgpr_workitem_id 0
		.amdhsa_next_free_vgpr 142
		.amdhsa_next_free_sgpr 21
		.amdhsa_reserve_vcc 1
		.amdhsa_reserve_flat_scratch 0
		.amdhsa_float_round_mode_32 0
		.amdhsa_float_round_mode_16_64 0
		.amdhsa_float_denorm_mode_32 3
		.amdhsa_float_denorm_mode_16_64 3
		.amdhsa_dx10_clamp 1
		.amdhsa_ieee_mode 1
		.amdhsa_fp16_overflow 0
		.amdhsa_workgroup_processor_mode 1
		.amdhsa_memory_ordered 1
		.amdhsa_forward_progress 0
		.amdhsa_shared_vgpr_count 0
		.amdhsa_exception_fp_ieee_invalid_op 0
		.amdhsa_exception_fp_denorm_src 0
		.amdhsa_exception_fp_ieee_div_zero 0
		.amdhsa_exception_fp_ieee_overflow 0
		.amdhsa_exception_fp_ieee_underflow 0
		.amdhsa_exception_fp_ieee_inexact 0
		.amdhsa_exception_int_div_zero 0
	.end_amdhsa_kernel
	.text
.Lfunc_end0:
	.size	fft_rtc_back_len864_factors_3_6_16_3_wgs_54_tpt_54_halfLds_dp_ip_CI_unitstride_sbrr_dirReg, .Lfunc_end0-fft_rtc_back_len864_factors_3_6_16_3_wgs_54_tpt_54_halfLds_dp_ip_CI_unitstride_sbrr_dirReg
                                        ; -- End function
	.section	.AMDGPU.csdata,"",@progbits
; Kernel info:
; codeLenInByte = 9932
; NumSgprs: 23
; NumVgprs: 142
; ScratchSize: 0
; MemoryBound: 1
; FloatMode: 240
; IeeeMode: 1
; LDSByteSize: 0 bytes/workgroup (compile time only)
; SGPRBlocks: 2
; VGPRBlocks: 17
; NumSGPRsForWavesPerEU: 23
; NumVGPRsForWavesPerEU: 142
; Occupancy: 7
; WaveLimiterHint : 1
; COMPUTE_PGM_RSRC2:SCRATCH_EN: 0
; COMPUTE_PGM_RSRC2:USER_SGPR: 6
; COMPUTE_PGM_RSRC2:TRAP_HANDLER: 0
; COMPUTE_PGM_RSRC2:TGID_X_EN: 1
; COMPUTE_PGM_RSRC2:TGID_Y_EN: 0
; COMPUTE_PGM_RSRC2:TGID_Z_EN: 0
; COMPUTE_PGM_RSRC2:TIDIG_COMP_CNT: 0
	.text
	.p2alignl 6, 3214868480
	.fill 48, 4, 3214868480
	.type	__hip_cuid_e1429d31473c9200,@object ; @__hip_cuid_e1429d31473c9200
	.section	.bss,"aw",@nobits
	.globl	__hip_cuid_e1429d31473c9200
__hip_cuid_e1429d31473c9200:
	.byte	0                               ; 0x0
	.size	__hip_cuid_e1429d31473c9200, 1

	.ident	"AMD clang version 19.0.0git (https://github.com/RadeonOpenCompute/llvm-project roc-6.4.0 25133 c7fe45cf4b819c5991fe208aaa96edf142730f1d)"
	.section	".note.GNU-stack","",@progbits
	.addrsig
	.addrsig_sym __hip_cuid_e1429d31473c9200
	.amdgpu_metadata
---
amdhsa.kernels:
  - .args:
      - .actual_access:  read_only
        .address_space:  global
        .offset:         0
        .size:           8
        .value_kind:     global_buffer
      - .offset:         8
        .size:           8
        .value_kind:     by_value
      - .actual_access:  read_only
        .address_space:  global
        .offset:         16
        .size:           8
        .value_kind:     global_buffer
      - .actual_access:  read_only
        .address_space:  global
        .offset:         24
        .size:           8
        .value_kind:     global_buffer
      - .offset:         32
        .size:           8
        .value_kind:     by_value
      - .actual_access:  read_only
        .address_space:  global
        .offset:         40
        .size:           8
        .value_kind:     global_buffer
      - .actual_access:  read_only
        .address_space:  global
        .offset:         48
        .size:           8
        .value_kind:     global_buffer
      - .offset:         56
        .size:           4
        .value_kind:     by_value
      - .actual_access:  read_only
        .address_space:  global
        .offset:         64
        .size:           8
        .value_kind:     global_buffer
      - .actual_access:  read_only
        .address_space:  global
        .offset:         72
        .size:           8
        .value_kind:     global_buffer
      - .address_space:  global
        .offset:         80
        .size:           8
        .value_kind:     global_buffer
    .group_segment_fixed_size: 0
    .kernarg_segment_align: 8
    .kernarg_segment_size: 88
    .language:       OpenCL C
    .language_version:
      - 2
      - 0
    .max_flat_workgroup_size: 54
    .name:           fft_rtc_back_len864_factors_3_6_16_3_wgs_54_tpt_54_halfLds_dp_ip_CI_unitstride_sbrr_dirReg
    .private_segment_fixed_size: 0
    .sgpr_count:     23
    .sgpr_spill_count: 0
    .symbol:         fft_rtc_back_len864_factors_3_6_16_3_wgs_54_tpt_54_halfLds_dp_ip_CI_unitstride_sbrr_dirReg.kd
    .uniform_work_group_size: 1
    .uses_dynamic_stack: false
    .vgpr_count:     142
    .vgpr_spill_count: 0
    .wavefront_size: 32
    .workgroup_processor_mode: 1
amdhsa.target:   amdgcn-amd-amdhsa--gfx1030
amdhsa.version:
  - 1
  - 2
...

	.end_amdgpu_metadata
